;; amdgpu-corpus repo=ROCm/rocFFT kind=compiled arch=gfx906 opt=O3
	.text
	.amdgcn_target "amdgcn-amd-amdhsa--gfx906"
	.amdhsa_code_object_version 6
	.protected	bluestein_single_back_len256_dim1_dp_op_CI_CI ; -- Begin function bluestein_single_back_len256_dim1_dp_op_CI_CI
	.globl	bluestein_single_back_len256_dim1_dp_op_CI_CI
	.p2align	8
	.type	bluestein_single_back_len256_dim1_dp_op_CI_CI,@function
bluestein_single_back_len256_dim1_dp_op_CI_CI: ; @bluestein_single_back_len256_dim1_dp_op_CI_CI
; %bb.0:
	s_load_dwordx4 s[16:19], s[4:5], 0x28
	s_mov_b32 s7, 0
	s_waitcnt lgkmcnt(0)
	v_mov_b32_e32 v1, s16
	v_mov_b32_e32 v2, s17
	v_cmp_lt_u64_e32 vcc, s[6:7], v[1:2]
	s_and_saveexec_b64 s[0:1], vcc
	s_cbranch_execz .LBB0_2
; %bb.1:
	s_load_dwordx4 s[0:3], s[4:5], 0x18
	s_load_dwordx4 s[8:11], s[4:5], 0x0
	v_mov_b32_e32 v54, s7
	v_mov_b32_e32 v53, s6
	v_lshlrev_b32_e32 v54, 4, v0
	s_waitcnt lgkmcnt(0)
	s_load_dwordx4 s[12:15], s[0:1], 0x0
	v_and_b32_e32 v49, 3, v0
	v_lshlrev_b32_e32 v55, 6, v0
	v_lshlrev_b32_e32 v67, 2, v0
	v_and_b32_e32 v68, 15, v0
	s_waitcnt lgkmcnt(0)
	v_mad_u64_u32 v[1:2], s[0:1], s14, v53, 0
	v_mad_u64_u32 v[3:4], s[0:1], s12, v0, 0
	s_load_dwordx2 s[4:5], s[4:5], 0x38
	v_mad_u64_u32 v[5:6], s[0:1], s15, v53, v[2:3]
	v_mad_u64_u32 v[6:7], s[0:1], s13, v0, v[4:5]
	v_mov_b32_e32 v2, v5
	v_lshlrev_b64 v[1:2], 4, v[1:2]
	v_mov_b32_e32 v4, v6
	v_mov_b32_e32 v7, s19
	v_lshlrev_b64 v[3:4], 4, v[3:4]
	v_add_co_u32_e32 v1, vcc, s18, v1
	v_addc_co_u32_e32 v2, vcc, v7, v2, vcc
	v_add_co_u32_e32 v1, vcc, v1, v3
	v_addc_co_u32_e32 v2, vcc, v2, v4, vcc
	global_load_dwordx4 v[17:20], v[1:2], off
	global_load_dwordx4 v[5:8], v54, s[8:9]
	s_lshl_b64 s[0:1], s[12:13], 10
	v_add_co_u32_e32 v9, vcc, s0, v1
	v_mov_b32_e32 v15, s1
	v_addc_co_u32_e32 v10, vcc, v2, v15, vcc
	v_add_co_u32_e32 v13, vcc, s0, v9
	global_load_dwordx4 v[21:24], v[9:10], off
	global_load_dwordx4 v[1:4], v54, s[8:9] offset:1024
	v_addc_co_u32_e32 v14, vcc, v10, v15, vcc
	global_load_dwordx4 v[25:28], v[13:14], off
	global_load_dwordx4 v[9:12], v54, s[8:9] offset:2048
	v_add_co_u32_e32 v33, vcc, s0, v13
	v_addc_co_u32_e32 v34, vcc, v14, v15, vcc
	global_load_dwordx4 v[13:16], v54, s[8:9] offset:3072
	global_load_dwordx4 v[29:32], v[33:34], off
	s_load_dwordx4 s[0:3], s[2:3], 0x0
	s_waitcnt vmcnt(6)
	v_mul_f64 v[33:34], v[19:20], v[7:8]
	v_mul_f64 v[35:36], v[17:18], v[7:8]
	v_fma_f64 v[17:18], v[17:18], v[5:6], v[33:34]
	s_waitcnt vmcnt(4)
	v_mul_f64 v[37:38], v[23:24], v[3:4]
	v_mul_f64 v[39:40], v[21:22], v[3:4]
	v_fma_f64 v[19:20], v[19:20], v[5:6], -v[35:36]
	s_waitcnt vmcnt(2)
	v_mul_f64 v[41:42], v[27:28], v[11:12]
	v_mul_f64 v[43:44], v[25:26], v[11:12]
	s_waitcnt vmcnt(0)
	v_mul_f64 v[45:46], v[31:32], v[15:16]
	v_mul_f64 v[33:34], v[29:30], v[15:16]
	v_fma_f64 v[21:22], v[21:22], v[1:2], v[37:38]
	v_fma_f64 v[23:24], v[23:24], v[1:2], -v[39:40]
	v_fma_f64 v[25:26], v[25:26], v[9:10], v[41:42]
	v_fma_f64 v[27:28], v[27:28], v[9:10], -v[43:44]
	v_mad_u64_u32 v[41:42], s[6:7], v49, 48, s[10:11]
	v_fma_f64 v[29:30], v[29:30], v[13:14], v[45:46]
	v_fma_f64 v[31:32], v[31:32], v[13:14], -v[33:34]
	ds_write_b128 v54, v[17:20]
	ds_write_b128 v54, v[21:24] offset:1024
	ds_write_b128 v54, v[25:28] offset:2048
	;; [unrolled: 1-line block ×3, first 2 shown]
	s_waitcnt lgkmcnt(0)
	; wave barrier
	s_waitcnt lgkmcnt(0)
	ds_read_b128 v[17:20], v54
	ds_read_b128 v[21:24], v54 offset:2048
	ds_read_b128 v[25:28], v54 offset:1024
	;; [unrolled: 1-line block ×3, first 2 shown]
	s_waitcnt lgkmcnt(0)
	; wave barrier
	s_waitcnt lgkmcnt(0)
	v_add_f64 v[33:34], v[17:18], -v[21:22]
	v_add_f64 v[35:36], v[19:20], -v[23:24]
	;; [unrolled: 1-line block ×4, first 2 shown]
	s_movk_i32 s6, 0xf0
	v_fma_f64 v[29:30], v[17:18], 2.0, -v[33:34]
	v_fma_f64 v[31:32], v[19:20], 2.0, -v[35:36]
	;; [unrolled: 1-line block ×4, first 2 shown]
	v_add_f64 v[17:18], v[33:34], -v[23:24]
	v_add_f64 v[19:20], v[35:36], v[21:22]
	v_add_f64 v[21:22], v[29:30], -v[25:26]
	v_add_f64 v[23:24], v[31:32], -v[27:28]
	v_fma_f64 v[25:26], v[33:34], 2.0, -v[17:18]
	v_fma_f64 v[27:28], v[35:36], 2.0, -v[19:20]
	v_fma_f64 v[29:30], v[29:30], 2.0, -v[21:22]
	v_fma_f64 v[31:32], v[31:32], 2.0, -v[23:24]
	ds_write_b128 v55, v[17:20] offset:48
	ds_write_b128 v55, v[25:28] offset:16
	;; [unrolled: 1-line block ×3, first 2 shown]
	ds_write_b128 v55, v[29:32]
	s_waitcnt lgkmcnt(0)
	; wave barrier
	s_waitcnt lgkmcnt(0)
	global_load_dwordx4 v[37:40], v[41:42], off
	global_load_dwordx4 v[33:36], v[41:42], off offset:16
	global_load_dwordx4 v[29:32], v[41:42], off offset:32
	ds_read_b128 v[17:20], v54 offset:1024
	ds_read_b128 v[21:24], v54 offset:2048
	s_waitcnt vmcnt(2) lgkmcnt(1)
	v_mul_f64 v[25:26], v[19:20], v[39:40]
	v_mul_f64 v[27:28], v[17:18], v[39:40]
	s_waitcnt vmcnt(1) lgkmcnt(0)
	v_mul_f64 v[41:42], v[23:24], v[35:36]
	v_mul_f64 v[43:44], v[21:22], v[35:36]
	v_fma_f64 v[25:26], v[17:18], v[37:38], -v[25:26]
	v_fma_f64 v[27:28], v[19:20], v[37:38], v[27:28]
	ds_read_b128 v[17:20], v54 offset:3072
	v_fma_f64 v[21:22], v[21:22], v[33:34], -v[41:42]
	v_fma_f64 v[23:24], v[23:24], v[33:34], v[43:44]
	s_waitcnt vmcnt(0) lgkmcnt(0)
	v_mul_f64 v[45:46], v[19:20], v[31:32]
	v_mul_f64 v[41:42], v[17:18], v[31:32]
	v_fma_f64 v[43:44], v[17:18], v[29:30], -v[45:46]
	v_fma_f64 v[41:42], v[19:20], v[29:30], v[41:42]
	ds_read_b128 v[17:20], v54
	s_waitcnt lgkmcnt(0)
	; wave barrier
	s_waitcnt lgkmcnt(0)
	v_add_f64 v[45:46], v[17:18], -v[21:22]
	v_add_f64 v[47:48], v[19:20], -v[23:24]
	;; [unrolled: 1-line block ×4, first 2 shown]
	v_fma_f64 v[41:42], v[17:18], 2.0, -v[45:46]
	v_fma_f64 v[43:44], v[19:20], 2.0, -v[47:48]
	;; [unrolled: 1-line block ×4, first 2 shown]
	v_add_f64 v[17:18], v[45:46], -v[23:24]
	v_add_f64 v[19:20], v[47:48], v[21:22]
	v_add_f64 v[21:22], v[41:42], -v[25:26]
	v_add_f64 v[23:24], v[43:44], -v[27:28]
	v_fma_f64 v[25:26], v[45:46], 2.0, -v[17:18]
	v_fma_f64 v[27:28], v[47:48], 2.0, -v[19:20]
	v_and_or_b32 v45, v67, s6, v49
	v_mad_u64_u32 v[57:58], s[6:7], v68, 48, s[10:11]
	v_lshlrev_b32_e32 v56, 4, v45
	v_fma_f64 v[41:42], v[41:42], 2.0, -v[21:22]
	v_fma_f64 v[43:44], v[43:44], 2.0, -v[23:24]
	ds_write_b128 v56, v[17:20] offset:192
	ds_write_b128 v56, v[25:28] offset:64
	;; [unrolled: 1-line block ×3, first 2 shown]
	ds_write_b128 v56, v[41:44]
	s_waitcnt lgkmcnt(0)
	; wave barrier
	s_waitcnt lgkmcnt(0)
	global_load_dwordx4 v[49:52], v[57:58], off offset:192
	global_load_dwordx4 v[45:48], v[57:58], off offset:208
	;; [unrolled: 1-line block ×3, first 2 shown]
	ds_read_b128 v[17:20], v54 offset:1024
	s_movk_i32 s6, 0xc0
	s_waitcnt vmcnt(2) lgkmcnt(0)
	v_mul_f64 v[21:22], v[19:20], v[51:52]
	v_mul_f64 v[23:24], v[17:18], v[51:52]
	v_fma_f64 v[25:26], v[17:18], v[49:50], -v[21:22]
	v_fma_f64 v[27:28], v[19:20], v[49:50], v[23:24]
	ds_read_b128 v[17:20], v54 offset:2048
	s_waitcnt vmcnt(1) lgkmcnt(0)
	v_mul_f64 v[21:22], v[19:20], v[47:48]
	v_fma_f64 v[21:22], v[17:18], v[45:46], -v[21:22]
	v_mul_f64 v[17:18], v[17:18], v[47:48]
	v_fma_f64 v[23:24], v[19:20], v[45:46], v[17:18]
	ds_read_b128 v[17:20], v54 offset:3072
	s_waitcnt vmcnt(0) lgkmcnt(0)
	v_mul_f64 v[57:58], v[19:20], v[43:44]
	v_fma_f64 v[57:58], v[17:18], v[41:42], -v[57:58]
	v_mul_f64 v[17:18], v[17:18], v[43:44]
	v_add_f64 v[65:66], v[25:26], -v[57:58]
	v_fma_f64 v[59:60], v[19:20], v[41:42], v[17:18]
	ds_read_b128 v[17:20], v54
	v_and_or_b32 v57, v67, s6, v68
	v_lshlrev_b32_e32 v57, 4, v57
	s_waitcnt lgkmcnt(0)
	; wave barrier
	s_waitcnt lgkmcnt(0)
	v_add_f64 v[21:22], v[17:18], -v[21:22]
	v_add_f64 v[23:24], v[19:20], -v[23:24]
	;; [unrolled: 1-line block ×3, first 2 shown]
	v_fma_f64 v[61:62], v[17:18], 2.0, -v[21:22]
	v_fma_f64 v[63:64], v[19:20], 2.0, -v[23:24]
	v_add_f64 v[17:18], v[21:22], -v[59:60]
	v_add_f64 v[19:20], v[23:24], v[65:66]
	v_fma_f64 v[21:22], v[21:22], 2.0, -v[17:18]
	v_fma_f64 v[23:24], v[23:24], 2.0, -v[19:20]
	ds_write_b128 v57, v[17:20] offset:768
	ds_write_b128 v57, v[21:24] offset:256
	v_fma_f64 v[17:18], v[25:26], 2.0, -v[65:66]
	v_fma_f64 v[19:20], v[27:28], 2.0, -v[59:60]
	v_mad_u64_u32 v[58:59], s[6:7], v0, 48, s[10:11]
	s_movk_i32 s6, 0x1000
	v_add_f64 v[17:18], v[61:62], -v[17:18]
	v_add_f64 v[19:20], v[63:64], -v[19:20]
	v_fma_f64 v[21:22], v[61:62], 2.0, -v[17:18]
	v_fma_f64 v[23:24], v[63:64], 2.0, -v[19:20]
	ds_write_b128 v57, v[17:20] offset:512
	ds_write_b128 v57, v[21:24]
	s_waitcnt lgkmcnt(0)
	; wave barrier
	s_waitcnt lgkmcnt(0)
	global_load_dwordx4 v[25:28], v[58:59], off offset:960
	ds_read_b128 v[17:20], v54 offset:1024
	s_waitcnt vmcnt(0) lgkmcnt(0)
	v_mul_f64 v[21:22], v[19:20], v[27:28]
	v_fma_f64 v[66:67], v[17:18], v[25:26], -v[21:22]
	global_load_dwordx4 v[21:24], v[58:59], off offset:976
	v_mul_f64 v[17:18], v[17:18], v[27:28]
	v_fma_f64 v[68:69], v[19:20], v[25:26], v[17:18]
	ds_read_b128 v[17:20], v54 offset:2048
	s_waitcnt vmcnt(0) lgkmcnt(0)
	v_mul_f64 v[60:61], v[19:20], v[23:24]
	v_fma_f64 v[62:63], v[17:18], v[21:22], -v[60:61]
	v_mul_f64 v[17:18], v[17:18], v[23:24]
	v_fma_f64 v[64:65], v[19:20], v[21:22], v[17:18]
	global_load_dwordx4 v[17:20], v[58:59], off offset:992
	ds_read_b128 v[58:61], v54 offset:3072
	s_waitcnt vmcnt(0) lgkmcnt(0)
	v_mul_f64 v[70:71], v[60:61], v[19:20]
	v_fma_f64 v[70:71], v[58:59], v[17:18], -v[70:71]
	v_mul_f64 v[58:59], v[58:59], v[19:20]
	v_add_f64 v[70:71], v[66:67], -v[70:71]
	v_fma_f64 v[72:73], v[60:61], v[17:18], v[58:59]
	ds_read_b128 v[58:61], v54
	s_waitcnt lgkmcnt(0)
	v_add_f64 v[62:63], v[58:59], -v[62:63]
	v_add_f64 v[64:65], v[60:61], -v[64:65]
	;; [unrolled: 1-line block ×3, first 2 shown]
	v_fma_f64 v[74:75], v[58:59], 2.0, -v[62:63]
	v_fma_f64 v[76:77], v[60:61], 2.0, -v[64:65]
	v_add_f64 v[58:59], v[62:63], -v[72:73]
	v_add_f64 v[60:61], v[64:65], v[70:71]
	v_fma_f64 v[62:63], v[62:63], 2.0, -v[58:59]
	v_fma_f64 v[64:65], v[64:65], 2.0, -v[60:61]
	ds_write_b128 v54, v[58:61] offset:3072
	ds_write_b128 v54, v[62:65] offset:1024
	v_fma_f64 v[58:59], v[66:67], 2.0, -v[70:71]
	v_fma_f64 v[60:61], v[68:69], 2.0, -v[72:73]
	v_add_f64 v[58:59], v[74:75], -v[58:59]
	v_add_f64 v[60:61], v[76:77], -v[60:61]
	v_fma_f64 v[62:63], v[74:75], 2.0, -v[58:59]
	v_fma_f64 v[64:65], v[76:77], 2.0, -v[60:61]
	ds_write_b128 v54, v[58:61] offset:2048
	ds_write_b128 v54, v[62:65]
	v_add_co_u32_e32 v58, vcc, s8, v54
	v_mov_b32_e32 v59, s9
	v_addc_co_u32_e32 v59, vcc, 0, v59, vcc
	v_add_co_u32_e32 v78, vcc, s6, v58
	v_addc_co_u32_e32 v79, vcc, 0, v59, vcc
	s_waitcnt lgkmcnt(0)
	; wave barrier
	s_waitcnt lgkmcnt(0)
	global_load_dwordx4 v[58:61], v[78:79], off
	ds_read_b128 v[62:65], v54
	ds_read_b128 v[74:77], v54 offset:2048
	ds_read_b128 v[80:83], v54 offset:3072
	s_waitcnt vmcnt(0) lgkmcnt(2)
	v_mul_f64 v[66:67], v[64:65], v[60:61]
	v_mul_f64 v[68:69], v[62:63], v[60:61]
	v_fma_f64 v[60:61], v[62:63], v[58:59], -v[66:67]
	v_fma_f64 v[62:63], v[64:65], v[58:59], v[68:69]
	global_load_dwordx4 v[64:67], v[78:79], off offset:1024
	ds_read_b128 v[68:71], v54 offset:1024
	s_waitcnt vmcnt(0) lgkmcnt(0)
	v_mul_f64 v[58:59], v[70:71], v[66:67]
	v_mul_f64 v[72:73], v[68:69], v[66:67]
	v_fma_f64 v[66:67], v[68:69], v[64:65], -v[58:59]
	v_fma_f64 v[68:69], v[70:71], v[64:65], v[72:73]
	global_load_dwordx4 v[70:73], v[78:79], off offset:2048
	s_waitcnt vmcnt(0)
	v_mul_f64 v[58:59], v[76:77], v[72:73]
	v_mul_f64 v[64:65], v[74:75], v[72:73]
	v_fma_f64 v[72:73], v[74:75], v[70:71], -v[58:59]
	v_fma_f64 v[74:75], v[76:77], v[70:71], v[64:65]
	global_load_dwordx4 v[76:79], v[78:79], off offset:3072
	s_waitcnt vmcnt(0)
	v_mul_f64 v[58:59], v[82:83], v[78:79]
	v_mul_f64 v[64:65], v[80:81], v[78:79]
	v_fma_f64 v[78:79], v[80:81], v[76:77], -v[58:59]
	v_fma_f64 v[80:81], v[82:83], v[76:77], v[64:65]
	ds_write_b128 v54, v[60:63]
	ds_write_b128 v54, v[66:69] offset:1024
	ds_write_b128 v54, v[72:75] offset:2048
	ds_write_b128 v54, v[78:81] offset:3072
	s_waitcnt lgkmcnt(0)
	; wave barrier
	s_waitcnt lgkmcnt(0)
	ds_read_b128 v[58:61], v54 offset:1024
	ds_read_b128 v[62:65], v54 offset:3072
	s_waitcnt lgkmcnt(0)
	v_add_f64 v[70:71], v[58:59], -v[62:63]
	v_add_f64 v[72:73], v[60:61], -v[64:65]
	ds_read_b128 v[62:65], v54
	ds_read_b128 v[66:69], v54 offset:2048
	s_waitcnt lgkmcnt(0)
	; wave barrier
	s_waitcnt lgkmcnt(0)
	v_add_f64 v[66:67], v[62:63], -v[66:67]
	v_add_f64 v[68:69], v[64:65], -v[68:69]
	v_fma_f64 v[74:75], v[58:59], 2.0, -v[70:71]
	v_fma_f64 v[76:77], v[60:61], 2.0, -v[72:73]
	v_add_f64 v[58:59], v[66:67], v[72:73]
	v_add_f64 v[60:61], v[68:69], -v[70:71]
	v_fma_f64 v[70:71], v[62:63], 2.0, -v[66:67]
	v_fma_f64 v[72:73], v[64:65], 2.0, -v[68:69]
	;; [unrolled: 1-line block ×4, first 2 shown]
	ds_write_b128 v55, v[58:61] offset:48
	ds_write_b128 v55, v[62:65] offset:16
	v_add_f64 v[58:59], v[70:71], -v[74:75]
	v_add_f64 v[60:61], v[72:73], -v[76:77]
	v_fma_f64 v[62:63], v[70:71], 2.0, -v[58:59]
	v_fma_f64 v[64:65], v[72:73], 2.0, -v[60:61]
	ds_write_b128 v55, v[58:61] offset:32
	ds_write_b128 v55, v[62:65]
	s_waitcnt lgkmcnt(0)
	; wave barrier
	s_waitcnt lgkmcnt(0)
	ds_read_b128 v[58:61], v54 offset:1024
	s_waitcnt lgkmcnt(0)
	v_mul_f64 v[62:63], v[39:40], v[60:61]
	v_mul_f64 v[39:40], v[39:40], v[58:59]
	v_fma_f64 v[62:63], v[37:38], v[58:59], v[62:63]
	v_fma_f64 v[58:59], v[37:38], v[60:61], -v[39:40]
	ds_read_b128 v[37:40], v54 offset:2048
	s_waitcnt lgkmcnt(0)
	v_mul_f64 v[60:61], v[35:36], v[39:40]
	v_mul_f64 v[35:36], v[35:36], v[37:38]
	v_fma_f64 v[60:61], v[33:34], v[37:38], v[60:61]
	v_fma_f64 v[37:38], v[33:34], v[39:40], -v[35:36]
	ds_read_b128 v[33:36], v54 offset:3072
	s_waitcnt lgkmcnt(0)
	v_mul_f64 v[39:40], v[31:32], v[35:36]
	v_mul_f64 v[31:32], v[31:32], v[33:34]
	v_fma_f64 v[39:40], v[29:30], v[33:34], v[39:40]
	v_fma_f64 v[33:34], v[29:30], v[35:36], -v[31:32]
	ds_read_b128 v[29:32], v54
	s_waitcnt lgkmcnt(0)
	; wave barrier
	s_waitcnt lgkmcnt(0)
	v_add_f64 v[35:36], v[29:30], -v[60:61]
	v_add_f64 v[37:38], v[31:32], -v[37:38]
	;; [unrolled: 1-line block ×4, first 2 shown]
	v_fma_f64 v[60:61], v[29:30], 2.0, -v[35:36]
	v_fma_f64 v[64:65], v[31:32], 2.0, -v[37:38]
	v_add_f64 v[29:30], v[35:36], v[66:67]
	v_add_f64 v[31:32], v[37:38], -v[39:40]
	v_fma_f64 v[33:34], v[35:36], 2.0, -v[29:30]
	v_fma_f64 v[35:36], v[37:38], 2.0, -v[31:32]
	ds_write_b128 v56, v[29:32] offset:192
	ds_write_b128 v56, v[33:36] offset:64
	v_fma_f64 v[29:30], v[62:63], 2.0, -v[39:40]
	v_fma_f64 v[31:32], v[58:59], 2.0, -v[66:67]
	v_add_f64 v[29:30], v[60:61], -v[29:30]
	v_add_f64 v[31:32], v[64:65], -v[31:32]
	v_fma_f64 v[33:34], v[60:61], 2.0, -v[29:30]
	v_fma_f64 v[35:36], v[64:65], 2.0, -v[31:32]
	ds_write_b128 v56, v[29:32] offset:128
	ds_write_b128 v56, v[33:36]
	s_waitcnt lgkmcnt(0)
	; wave barrier
	s_waitcnt lgkmcnt(0)
	ds_read_b128 v[29:32], v54 offset:1024
	s_waitcnt lgkmcnt(0)
	v_mul_f64 v[33:34], v[51:52], v[31:32]
	v_mul_f64 v[35:36], v[51:52], v[29:30]
	v_fma_f64 v[33:34], v[49:50], v[29:30], v[33:34]
	v_fma_f64 v[35:36], v[49:50], v[31:32], -v[35:36]
	ds_read_b128 v[29:32], v54 offset:2048
	s_waitcnt lgkmcnt(0)
	v_mul_f64 v[37:38], v[47:48], v[31:32]
	v_mul_f64 v[39:40], v[47:48], v[29:30]
	v_fma_f64 v[37:38], v[45:46], v[29:30], v[37:38]
	v_fma_f64 v[39:40], v[45:46], v[31:32], -v[39:40]
	;; [unrolled: 6-line block ×3, first 2 shown]
	ds_read_b128 v[29:32], v54
	s_waitcnt lgkmcnt(0)
	; wave barrier
	s_waitcnt lgkmcnt(0)
	v_add_f64 v[37:38], v[29:30], -v[37:38]
	v_add_f64 v[39:40], v[31:32], -v[39:40]
	;; [unrolled: 1-line block ×4, first 2 shown]
	v_fma_f64 v[45:46], v[29:30], 2.0, -v[37:38]
	v_fma_f64 v[47:48], v[31:32], 2.0, -v[39:40]
	;; [unrolled: 1-line block ×4, first 2 shown]
	v_add_f64 v[29:30], v[37:38], v[41:42]
	v_add_f64 v[31:32], v[39:40], -v[43:44]
	v_add_f64 v[33:34], v[45:46], -v[33:34]
	;; [unrolled: 1-line block ×3, first 2 shown]
	v_fma_f64 v[37:38], v[37:38], 2.0, -v[29:30]
	v_fma_f64 v[39:40], v[39:40], 2.0, -v[31:32]
	;; [unrolled: 1-line block ×4, first 2 shown]
	ds_write_b128 v57, v[29:32] offset:768
	ds_write_b128 v57, v[37:40] offset:256
	;; [unrolled: 1-line block ×3, first 2 shown]
	ds_write_b128 v57, v[41:44]
	s_waitcnt lgkmcnt(0)
	; wave barrier
	s_waitcnt lgkmcnt(0)
	ds_read_b128 v[29:32], v54 offset:1024
	ds_read_b128 v[33:36], v54 offset:2048
	;; [unrolled: 1-line block ×3, first 2 shown]
	v_mov_b32_e32 v45, s5
	s_waitcnt lgkmcnt(2)
	v_mul_f64 v[41:42], v[27:28], v[31:32]
	v_mul_f64 v[27:28], v[27:28], v[29:30]
	s_waitcnt lgkmcnt(1)
	v_mul_f64 v[43:44], v[23:24], v[35:36]
	v_mul_f64 v[23:24], v[23:24], v[33:34]
	v_fma_f64 v[29:30], v[25:26], v[29:30], v[41:42]
	s_waitcnt lgkmcnt(0)
	v_mul_f64 v[41:42], v[19:20], v[39:40]
	v_mul_f64 v[19:20], v[19:20], v[37:38]
	v_fma_f64 v[25:26], v[25:26], v[31:32], -v[27:28]
	v_fma_f64 v[33:34], v[21:22], v[33:34], v[43:44]
	v_fma_f64 v[21:22], v[21:22], v[35:36], -v[23:24]
	v_mad_u64_u32 v[27:28], s[6:7], s2, v53, 0
	v_mad_u64_u32 v[31:32], s[6:7], s0, v0, 0
	v_fma_f64 v[35:36], v[17:18], v[37:38], v[41:42]
	v_fma_f64 v[37:38], v[17:18], v[39:40], -v[19:20]
	ds_read_b128 v[17:20], v54
	v_mov_b32_e32 v23, v28
	v_mov_b32_e32 v24, v32
	v_mad_u64_u32 v[39:40], s[2:3], s3, v53, v[23:24]
	s_waitcnt lgkmcnt(0)
	v_add_f64 v[33:34], v[17:18], -v[33:34]
	v_add_f64 v[40:41], v[19:20], -v[21:22]
	;; [unrolled: 1-line block ×4, first 2 shown]
	s_lshl_b64 s[6:7], s[0:1], 10
	v_mad_u64_u32 v[23:24], s[0:1], s1, v0, v[24:25]
	v_mov_b32_e32 v28, v39
	v_mov_b32_e32 v46, s7
	;; [unrolled: 1-line block ×3, first 2 shown]
	v_lshlrev_b64 v[23:24], 4, v[27:28]
	v_lshlrev_b64 v[27:28], 4, v[31:32]
	v_fma_f64 v[31:32], v[17:18], 2.0, -v[33:34]
	v_fma_f64 v[37:38], v[19:20], 2.0, -v[40:41]
	;; [unrolled: 1-line block ×4, first 2 shown]
	v_add_f64 v[17:18], v[33:34], v[35:36]
	v_add_f64 v[19:20], v[40:41], -v[21:22]
	v_add_co_u32_e32 v0, vcc, s4, v23
	v_addc_co_u32_e32 v39, vcc, v45, v24, vcc
	v_add_f64 v[21:22], v[31:32], -v[29:30]
	v_add_f64 v[23:24], v[37:38], -v[25:26]
	v_add_co_u32_e32 v35, vcc, v0, v27
	v_addc_co_u32_e32 v36, vcc, v39, v28, vcc
	v_fma_f64 v[25:26], v[33:34], 2.0, -v[17:18]
	v_fma_f64 v[27:28], v[40:41], 2.0, -v[19:20]
	;; [unrolled: 1-line block ×4, first 2 shown]
	ds_write_b128 v54, v[17:20] offset:3072
	ds_write_b128 v54, v[25:28] offset:1024
	;; [unrolled: 1-line block ×3, first 2 shown]
	ds_write_b128 v54, v[29:32]
	s_waitcnt lgkmcnt(0)
	; wave barrier
	s_waitcnt lgkmcnt(0)
	ds_read_b128 v[17:20], v54
	ds_read_b128 v[21:24], v54 offset:1024
	ds_read_b128 v[25:28], v54 offset:2048
	;; [unrolled: 1-line block ×3, first 2 shown]
	v_add_co_u32_e32 v33, vcc, s6, v35
	s_waitcnt lgkmcnt(3)
	v_mul_f64 v[38:39], v[7:8], v[19:20]
	v_mul_f64 v[7:8], v[7:8], v[17:18]
	s_waitcnt lgkmcnt(2)
	v_mul_f64 v[40:41], v[3:4], v[23:24]
	v_mul_f64 v[3:4], v[3:4], v[21:22]
	;; [unrolled: 3-line block ×3, first 2 shown]
	s_waitcnt lgkmcnt(0)
	v_mul_f64 v[44:45], v[15:16], v[31:32]
	v_addc_co_u32_e32 v34, vcc, v36, v46, vcc
	v_fma_f64 v[17:18], v[5:6], v[17:18], v[38:39]
	v_fma_f64 v[5:6], v[5:6], v[19:20], -v[7:8]
	v_mul_f64 v[7:8], v[15:16], v[29:30]
	v_fma_f64 v[15:16], v[1:2], v[21:22], v[40:41]
	v_fma_f64 v[19:20], v[1:2], v[23:24], -v[3:4]
	v_fma_f64 v[21:22], v[9:10], v[25:26], v[42:43]
	v_fma_f64 v[10:11], v[9:10], v[27:28], -v[11:12]
	v_fma_f64 v[23:24], v[13:14], v[29:30], v[44:45]
	v_ldexp_f64 v[0:1], v[17:18], -8
	v_ldexp_f64 v[2:3], v[5:6], -8
	v_fma_f64 v[25:26], v[13:14], v[31:32], -v[7:8]
	v_ldexp_f64 v[4:5], v[15:16], -8
	v_ldexp_f64 v[6:7], v[19:20], -8
	;; [unrolled: 1-line block ×5, first 2 shown]
	v_add_co_u32_e32 v37, vcc, s6, v33
	v_ldexp_f64 v[14:15], v[25:26], -8
	v_addc_co_u32_e32 v38, vcc, v34, v46, vcc
	v_add_co_u32_e32 v16, vcc, s6, v37
	v_addc_co_u32_e32 v17, vcc, v38, v46, vcc
	global_store_dwordx4 v[35:36], v[0:3], off
	global_store_dwordx4 v[33:34], v[4:7], off
	;; [unrolled: 1-line block ×4, first 2 shown]
.LBB0_2:
	s_endpgm
	.section	.rodata,"a",@progbits
	.p2align	6, 0x0
	.amdhsa_kernel bluestein_single_back_len256_dim1_dp_op_CI_CI
		.amdhsa_group_segment_fixed_size 4096
		.amdhsa_private_segment_fixed_size 0
		.amdhsa_kernarg_size 104
		.amdhsa_user_sgpr_count 6
		.amdhsa_user_sgpr_private_segment_buffer 1
		.amdhsa_user_sgpr_dispatch_ptr 0
		.amdhsa_user_sgpr_queue_ptr 0
		.amdhsa_user_sgpr_kernarg_segment_ptr 1
		.amdhsa_user_sgpr_dispatch_id 0
		.amdhsa_user_sgpr_flat_scratch_init 0
		.amdhsa_user_sgpr_private_segment_size 0
		.amdhsa_uses_dynamic_stack 0
		.amdhsa_system_sgpr_private_segment_wavefront_offset 0
		.amdhsa_system_sgpr_workgroup_id_x 1
		.amdhsa_system_sgpr_workgroup_id_y 0
		.amdhsa_system_sgpr_workgroup_id_z 0
		.amdhsa_system_sgpr_workgroup_info 0
		.amdhsa_system_vgpr_workitem_id 0
		.amdhsa_next_free_vgpr 84
		.amdhsa_next_free_sgpr 20
		.amdhsa_reserve_vcc 1
		.amdhsa_reserve_flat_scratch 0
		.amdhsa_float_round_mode_32 0
		.amdhsa_float_round_mode_16_64 0
		.amdhsa_float_denorm_mode_32 3
		.amdhsa_float_denorm_mode_16_64 3
		.amdhsa_dx10_clamp 1
		.amdhsa_ieee_mode 1
		.amdhsa_fp16_overflow 0
		.amdhsa_exception_fp_ieee_invalid_op 0
		.amdhsa_exception_fp_denorm_src 0
		.amdhsa_exception_fp_ieee_div_zero 0
		.amdhsa_exception_fp_ieee_overflow 0
		.amdhsa_exception_fp_ieee_underflow 0
		.amdhsa_exception_fp_ieee_inexact 0
		.amdhsa_exception_int_div_zero 0
	.end_amdhsa_kernel
	.text
.Lfunc_end0:
	.size	bluestein_single_back_len256_dim1_dp_op_CI_CI, .Lfunc_end0-bluestein_single_back_len256_dim1_dp_op_CI_CI
                                        ; -- End function
	.section	.AMDGPU.csdata,"",@progbits
; Kernel info:
; codeLenInByte = 3568
; NumSgprs: 24
; NumVgprs: 84
; ScratchSize: 0
; MemoryBound: 0
; FloatMode: 240
; IeeeMode: 1
; LDSByteSize: 4096 bytes/workgroup (compile time only)
; SGPRBlocks: 2
; VGPRBlocks: 20
; NumSGPRsForWavesPerEU: 24
; NumVGPRsForWavesPerEU: 84
; Occupancy: 3
; WaveLimiterHint : 1
; COMPUTE_PGM_RSRC2:SCRATCH_EN: 0
; COMPUTE_PGM_RSRC2:USER_SGPR: 6
; COMPUTE_PGM_RSRC2:TRAP_HANDLER: 0
; COMPUTE_PGM_RSRC2:TGID_X_EN: 1
; COMPUTE_PGM_RSRC2:TGID_Y_EN: 0
; COMPUTE_PGM_RSRC2:TGID_Z_EN: 0
; COMPUTE_PGM_RSRC2:TIDIG_COMP_CNT: 0
	.type	__hip_cuid_4e0762206816aaac,@object ; @__hip_cuid_4e0762206816aaac
	.section	.bss,"aw",@nobits
	.globl	__hip_cuid_4e0762206816aaac
__hip_cuid_4e0762206816aaac:
	.byte	0                               ; 0x0
	.size	__hip_cuid_4e0762206816aaac, 1

	.ident	"AMD clang version 19.0.0git (https://github.com/RadeonOpenCompute/llvm-project roc-6.4.0 25133 c7fe45cf4b819c5991fe208aaa96edf142730f1d)"
	.section	".note.GNU-stack","",@progbits
	.addrsig
	.addrsig_sym __hip_cuid_4e0762206816aaac
	.amdgpu_metadata
---
amdhsa.kernels:
  - .args:
      - .actual_access:  read_only
        .address_space:  global
        .offset:         0
        .size:           8
        .value_kind:     global_buffer
      - .actual_access:  read_only
        .address_space:  global
        .offset:         8
        .size:           8
        .value_kind:     global_buffer
      - .actual_access:  read_only
        .address_space:  global
        .offset:         16
        .size:           8
        .value_kind:     global_buffer
      - .actual_access:  read_only
        .address_space:  global
        .offset:         24
        .size:           8
        .value_kind:     global_buffer
      - .actual_access:  read_only
        .address_space:  global
        .offset:         32
        .size:           8
        .value_kind:     global_buffer
      - .offset:         40
        .size:           8
        .value_kind:     by_value
      - .address_space:  global
        .offset:         48
        .size:           8
        .value_kind:     global_buffer
      - .address_space:  global
        .offset:         56
        .size:           8
        .value_kind:     global_buffer
      - .address_space:  global
        .offset:         64
        .size:           8
        .value_kind:     global_buffer
      - .address_space:  global
        .offset:         72
        .size:           8
        .value_kind:     global_buffer
      - .offset:         80
        .size:           4
        .value_kind:     by_value
      - .address_space:  global
        .offset:         88
        .size:           8
        .value_kind:     global_buffer
      - .address_space:  global
        .offset:         96
        .size:           8
        .value_kind:     global_buffer
    .group_segment_fixed_size: 4096
    .kernarg_segment_align: 8
    .kernarg_segment_size: 104
    .language:       OpenCL C
    .language_version:
      - 2
      - 0
    .max_flat_workgroup_size: 64
    .name:           bluestein_single_back_len256_dim1_dp_op_CI_CI
    .private_segment_fixed_size: 0
    .sgpr_count:     24
    .sgpr_spill_count: 0
    .symbol:         bluestein_single_back_len256_dim1_dp_op_CI_CI.kd
    .uniform_work_group_size: 1
    .uses_dynamic_stack: false
    .vgpr_count:     84
    .vgpr_spill_count: 0
    .wavefront_size: 64
amdhsa.target:   amdgcn-amd-amdhsa--gfx906
amdhsa.version:
  - 1
  - 2
...

	.end_amdgpu_metadata
